;; amdgpu-corpus repo=zjin-lcf/HeCBench kind=compiled arch=gfx90a opt=O3
	.text
	.amdgcn_target "amdgcn-amd-amdhsa--gfx90a"
	.amdhsa_code_object_version 6
	.protected	_Z7presentiiPKhS0_PhS0_S0_S0_S0_S0_ ; -- Begin function _Z7presentiiPKhS0_PhS0_S0_S0_S0_S0_
	.globl	_Z7presentiiPKhS0_PhS0_S0_S0_S0_S0_
	.p2align	8
	.type	_Z7presentiiPKhS0_PhS0_S0_S0_S0_S0_,@function
_Z7presentiiPKhS0_PhS0_S0_S0_S0_S0_:    ; @_Z7presentiiPKhS0_PhS0_S0_S0_S0_S0_
; %bb.0:
	s_load_dword s0, s[4:5], 0x54
	s_load_dwordx2 s[16:17], s[4:5], 0x0
	s_waitcnt lgkmcnt(0)
	s_and_b32 s0, s0, 0xffff
	s_mul_i32 s6, s6, s0
	v_add_u32_e32 v0, s6, v0
	v_cmp_gt_i32_e32 vcc, s16, v0
	s_and_saveexec_b64 s[0:1], vcc
	s_cbranch_execz .LBB0_7
; %bb.1:
	s_load_dwordx8 s[8:15], s[4:5], 0x8
	v_lshlrev_b32_e32 v4, 3, v0
	v_ashrrev_i32_e32 v5, 31, v4
	v_mul_lo_u32 v0, v0, 10
	s_load_dwordx8 s[0:7], s[4:5], 0x28
	s_waitcnt lgkmcnt(0)
	v_mov_b32_e32 v1, s9
	v_add_co_u32_e32 v2, vcc, s8, v4
	v_addc_co_u32_e32 v3, vcc, v1, v5, vcc
	v_ashrrev_i32_e32 v1, 31, v0
	v_mov_b32_e32 v6, s11
	v_add_co_u32_e32 v0, vcc, s10, v0
	v_addc_co_u32_e32 v1, vcc, v6, v1, vcc
	global_load_dwordx2 v[8:9], v[2:3], off
	s_nop 0
	global_load_dwordx2 v[2:3], v[0:1], off
	global_load_ushort v6, v[0:1], off offset:8
	v_mov_b32_e32 v1, s13
	v_add_co_u32_e32 v0, vcc, s12, v4
	v_addc_co_u32_e32 v1, vcc, v1, v5, vcc
	v_mov_b32_e32 v12, 5
	v_mov_b32_e32 v13, s7
	;; [unrolled: 1-line block ×6, first 2 shown]
	s_cmp_lt_i32 s17, 2
	s_mov_b32 s8, 2
	s_waitcnt vmcnt(2)
	v_lshrrev_b32_e32 v10, 8, v8
	s_waitcnt vmcnt(1)
	v_lshrrev_b64 v[4:5], 24, v[2:3]
	v_lshrrev_b32_e32 v11, 8, v3
	v_xor_b32_e32 v5, v2, v8
	v_lshrrev_b32_e32 v14, 8, v9
	v_xor_b32_sdwa v15, v2, v8 dst_sel:DWORD dst_unused:UNUSED_PAD src0_sel:WORD_1 src1_sel:WORD_1
	v_xor_b32_e32 v16, v3, v9
	v_xor_b32_sdwa v23, v3, v9 dst_sel:DWORD dst_unused:UNUSED_PAD src0_sel:WORD_1 src1_sel:WORD_1
	v_xor_b32_sdwa v24, v3, v9 dst_sel:DWORD dst_unused:UNUSED_PAD src0_sel:BYTE_3 src1_sel:BYTE_3
	s_waitcnt vmcnt(0)
	v_lshrrev_b16_e32 v9, 3, v6
	v_xor_b32_sdwa v26, v4, v8 dst_sel:DWORD dst_unused:UNUSED_PAD src0_sel:DWORD src1_sel:BYTE_3
	v_lshrrev_b16_e32 v8, 3, v11
	v_and_b32_e32 v5, 0xff, v5
	v_lshlrev_b16_sdwa v17, v12, v3 dst_sel:DWORD dst_unused:UNUSED_PAD src0_sel:DWORD src1_sel:BYTE_3
	v_and_b32_e32 v9, 31, v9
	v_and_b32_e32 v30, 31, v8
	v_add_co_u32_e32 v8, vcc, s6, v5
	v_and_b32_e32 v28, 0xff, v15
	v_or_b32_e32 v31, v17, v9
	v_addc_co_u32_e32 v9, vcc, 0, v13, vcc
	v_xor_b32_e32 v27, v11, v14
	v_add_co_u32_e32 v14, vcc, s2, v28
	v_lshrrev_b32_e32 v21, 8, v2
	v_and_b32_e32 v29, 0xff, v16
	v_addc_co_u32_e32 v15, vcc, 0, v19, vcc
	v_xor_b32_e32 v10, v21, v10
	v_add_co_u32_e32 v16, vcc, s6, v29
	v_lshlrev_b16_e32 v25, 5, v3
	v_and_b32_e32 v32, 0xff, v10
	v_addc_co_u32_e32 v17, vcc, 0, v13, vcc
	v_or_b32_e32 v10, v25, v30
	global_load_ubyte v30, v[8:9], off
	v_add_co_u32_e32 v8, vcc, s4, v32
	v_and_b32_e32 v26, 0xff, v26
	v_addc_co_u32_e32 v9, vcc, 0, v18, vcc
	global_load_ubyte v33, v[14:15], off
	v_add_co_u32_e32 v14, vcc, s0, v26
	v_and_b32_e32 v27, 0xff, v27
	v_lshrrev_b16_e32 v25, 4, v31
	v_addc_co_u32_e32 v15, vcc, 0, v20, vcc
	global_load_ubyte v34, v[16:17], off
	v_add_co_u32_e32 v16, vcc, s4, v27
	v_and_b32_e32 v25, 15, v25
	v_addc_co_u32_e32 v17, vcc, 0, v18, vcc
	global_load_ubyte v35, v[8:9], off
	global_load_ubyte v36, v[14:15], off
	v_and_b32_e32 v8, 0xffff, v25
	v_add_co_u32_e32 v8, vcc, s14, v8
	v_addc_co_u32_e32 v9, vcc, 0, v7, vcc
	v_and_b32_e32 v7, 0xff, v23
	global_load_ubyte v14, v[8:9], off
	global_load_ubyte v15, v[16:17], off
	v_add_co_u32_e32 v8, vcc, s2, v7
	v_addc_co_u32_e32 v9, vcc, 0, v19, vcc
	global_load_ubyte v16, v[8:9], off
	global_load_ubyte v17, v24, s[0:1]
	v_add_co_u32_e32 v8, vcc, s0, v5
	v_addc_co_u32_e32 v9, vcc, 0, v20, vcc
	global_load_ubyte v23, v[8:9], off
	v_add_co_u32_e32 v8, vcc, s6, v32
	v_addc_co_u32_e32 v9, vcc, 0, v13, vcc
	global_load_ubyte v25, v[8:9], off
	;; [unrolled: 3-line block ×14, first 2 shown]
	global_load_ubyte v49, v24, s[2:3]
	global_load_ubyte v50, v24, s[4:5]
	v_add_co_u32_e32 v8, vcc, s4, v5
	v_addc_co_u32_e32 v9, vcc, 0, v18, vcc
	global_load_ubyte v51, v[8:9], off
	v_add_co_u32_e32 v8, vcc, s2, v32
	v_addc_co_u32_e32 v9, vcc, 0, v19, vcc
	global_load_ubyte v32, v[8:9], off
	;; [unrolled: 3-line block ×7, first 2 shown]
	v_lshrrev_b16_e32 v7, 3, v3
	global_load_ubyte v24, v24, s[6:7]
	v_lshlrev_b16_e32 v5, 5, v4
	v_and_b32_e32 v7, 31, v7
	v_lshrrev_b16_e32 v4, 3, v4
	v_or_b32_e32 v5, v5, v7
	v_and_b32_e32 v4, 31, v4
	v_lshlrev_b16_sdwa v7, v12, v2 dst_sel:DWORD dst_unused:UNUSED_PAD src0_sel:DWORD src1_sel:WORD_1
	v_or_b32_e32 v8, v7, v4
	v_lshrrev_b32_e32 v4, 19, v2
	v_and_b32_e32 v4, 31, v4
	v_lshlrev_b16_e32 v7, 5, v21
	v_lshrrev_b16_e32 v9, 3, v21
	v_lshrrev_b32_e32 v22, 8, v6
	v_or_b32_e32 v4, v7, v4
	v_lshlrev_b16_e32 v7, 5, v2
	v_and_b32_e32 v9, 31, v9
	v_lshrrev_b16_e32 v2, 3, v2
	v_or_b32_e32 v7, v7, v9
	v_and_b32_e32 v2, 31, v2
	v_lshlrev_b16_e32 v9, 5, v22
	v_or_b32_e32 v9, v9, v2
	v_lshlrev_b16_e32 v2, 5, v6
	v_lshrrev_b16_e32 v6, 3, v22
	v_and_b32_e32 v6, 31, v6
	v_or_b32_e32 v2, v2, v6
	v_and_b32_e32 v6, 15, v31
	s_waitcnt vmcnt(27)
	v_or_b32_e32 v6, v6, v14
	v_and_b32_e32 v13, 0xc0, v30
	v_and_b32_e32 v14, 48, v35
	v_or_b32_e32 v13, v14, v13
	v_and_b32_e32 v14, 12, v33
	v_or_b32_e32 v13, v13, v14
	;; [unrolled: 2-line block ×3, first 2 shown]
	v_and_b32_e32 v13, 0xc0, v34
	s_waitcnt vmcnt(26)
	v_and_b32_e32 v14, 48, v15
	v_or_b32_e32 v13, v14, v13
	s_waitcnt vmcnt(25)
	v_and_b32_e32 v14, 12, v16
	v_or_b32_e32 v13, v13, v14
	s_waitcnt vmcnt(24)
	v_and_b32_e32 v14, 3, v17
	v_or_b32_sdwa v27, v13, v14 dst_sel:BYTE_1 dst_unused:UNUSED_PAD src0_sel:DWORD src1_sel:DWORD
	s_waitcnt vmcnt(23)
	v_and_b32_e32 v13, 0xffffffc0, v23
	s_waitcnt vmcnt(22)
	v_and_b32_e32 v14, 48, v25
	v_or_b32_e32 v13, v14, v13
	s_waitcnt vmcnt(21)
	v_and_b32_e32 v14, 12, v37
	v_or_b32_e32 v13, v13, v14
	;; [unrolled: 3-line block ×3, first 2 shown]
	s_waitcnt vmcnt(19)
	v_and_b32_e32 v14, 0xffffffc0, v39
	s_waitcnt vmcnt(18)
	v_and_b32_e32 v15, 48, v40
	v_or_b32_e32 v14, v15, v14
	s_waitcnt vmcnt(17)
	v_and_b32_e32 v15, 12, v41
	v_or_b32_e32 v14, v14, v15
	;; [unrolled: 3-line block ×3, first 2 shown]
	v_and_b32_e32 v15, 0xffffffc0, v42
	v_and_b32_e32 v16, 48, v43
	v_or_b32_e32 v15, v16, v15
	v_and_b32_e32 v16, 12, v44
	v_or_b32_e32 v15, v15, v16
	;; [unrolled: 2-line block ×3, first 2 shown]
	v_and_b32_e32 v16, 0xffffffc0, v46
	v_and_b32_e32 v17, 48, v47
	v_or_b32_e32 v16, v17, v16
	v_and_b32_e32 v17, 12, v48
	v_or_b32_e32 v16, v16, v17
	s_waitcnt vmcnt(8)
	v_and_b32_e32 v17, 3, v50
	s_waitcnt vmcnt(3)
	v_and_b32_e32 v18, 0xffffffc0, v18
	v_or_b32_e32 v16, v16, v17
	v_and_b32_e32 v17, 0xffffffc0, v51
	v_and_b32_e32 v21, 48, v32
	v_or_b32_e32 v17, v21, v17
	s_waitcnt vmcnt(2)
	v_and_b32_e32 v19, 48, v19
	v_or_b32_e32 v18, v19, v18
	v_and_b32_e32 v21, 12, v28
	v_or_b32_e32 v17, v17, v21
	v_and_b32_e32 v21, 3, v26
	s_waitcnt vmcnt(1)
	v_and_b32_e32 v19, 12, v20
	v_or_b32_e32 v18, v18, v19
	s_waitcnt vmcnt(0)
	v_and_b32_e32 v19, 3, v24
	v_or_b32_e32 v19, v18, v19
	v_or_b32_e32 v17, v17, v21
	v_lshlrev_b16_e32 v18, 8, v16
	v_lshlrev_b16_e32 v20, 8, v19
	v_or_b32_sdwa v18, v15, v18 dst_sel:DWORD dst_unused:UNUSED_PAD src0_sel:BYTE_0 src1_sel:DWORD
	v_or_b32_sdwa v20, v17, v20 dst_sel:WORD_1 dst_unused:UNUSED_PAD src0_sel:BYTE_0 src1_sel:DWORD
	v_or_b32_sdwa v21, v18, v20 dst_sel:DWORD dst_unused:UNUSED_PAD src0_sel:WORD_0 src1_sel:DWORD
	v_lshlrev_b16_e32 v20, 8, v14
	v_or_b32_e32 v18, v22, v27
	v_or_b32_sdwa v20, v13, v20 dst_sel:WORD_1 dst_unused:UNUSED_PAD src0_sel:BYTE_0 src1_sel:DWORD
	v_or_b32_sdwa v20, v18, v20 dst_sel:DWORD dst_unused:UNUSED_PAD src0_sel:WORD_0 src1_sel:DWORD
	global_store_dwordx2 v[0:1], v[20:21], off
	s_cbranch_scc1 .LBB0_5
; %bb.2:
	global_load_ushort v18, v[0:1], off
	v_mov_b32_e32 v20, 3
	v_lshrrev_b16_sdwa v21, v20, v3 dst_sel:DWORD dst_unused:UNUSED_PAD src0_sel:DWORD src1_sel:WORD_1
	v_lshlrev_b16_e32 v11, 5, v11
	v_and_b32_e32 v21, 31, v21
	v_or_b32_e32 v11, v11, v21
	v_lshrrev_b16_sdwa v20, v20, v3 dst_sel:DWORD dst_unused:UNUSED_PAD src0_sel:DWORD src1_sel:BYTE_3
	v_lshlrev_b16_sdwa v3, v12, v3 dst_sel:DWORD dst_unused:UNUSED_PAD src0_sel:DWORD src1_sel:WORD_1
	v_xor_b32_e32 v11, 0xffffff80, v11
	v_or_b32_e32 v3, v3, v20
	s_waitcnt vmcnt(0)
	v_lshrrev_b16_e32 v12, 8, v18
.LBB0_3:                                ; =>This Inner Loop Header: Depth=1
	v_xor_b32_e32 v18, v18, v6
	v_and_b32_e32 v18, 0xff, v18
	v_xor_b32_e32 v20, v12, v2
	v_mov_b32_e32 v22, s7
	v_add_co_u32_e32 v12, vcc, s6, v18
	v_xor_b32_e32 v21, v13, v9
	v_addc_co_u32_e32 v13, vcc, 0, v22, vcc
	v_and_b32_e32 v20, 0xff, v20
	global_load_ubyte v23, v[12:13], off
	v_mov_b32_e32 v24, s5
	v_add_co_u32_e32 v12, vcc, s4, v20
	v_addc_co_u32_e32 v13, vcc, 0, v24, vcc
	v_and_b32_e32 v21, 0xff, v21
	v_xor_b32_e32 v14, v14, v7
	global_load_ubyte v25, v[12:13], off
	v_mov_b32_e32 v26, s3
	v_add_co_u32_e32 v12, vcc, s2, v21
	v_addc_co_u32_e32 v13, vcc, 0, v26, vcc
	v_and_b32_e32 v28, 0xff, v14
	v_xor_b32_e32 v15, v15, v4
	;; [unrolled: 6-line block ×3, first 2 shown]
	global_load_ubyte v30, v[12:13], off
	v_add_co_u32_e32 v12, vcc, s6, v31
	v_addc_co_u32_e32 v13, vcc, 0, v22, vcc
	v_and_b32_e32 v16, 0xff, v16
	v_xor_b32_e32 v17, v17, v5
	global_load_ubyte v32, v[12:13], off
	v_add_co_u32_e32 v12, vcc, s4, v16
	v_addc_co_u32_e32 v13, vcc, 0, v24, vcc
	v_and_b32_e32 v17, 0xff, v17
	v_xor_b32_e32 v19, v19, v10
	global_load_ubyte v33, v[12:13], off
	v_add_co_u32_e32 v12, vcc, s2, v17
	v_addc_co_u32_e32 v13, vcc, 0, v26, vcc
	v_and_b32_e32 v19, 0xff, v19
	global_load_ubyte v34, v[12:13], off
	v_add_co_u32_e32 v12, vcc, s0, v19
	v_addc_co_u32_e32 v13, vcc, 0, v29, vcc
	v_add_co_u32_e32 v14, vcc, s0, v18
	v_addc_co_u32_e32 v15, vcc, 0, v29, vcc
	global_load_ubyte v35, v[12:13], off
	global_load_ubyte v36, v[14:15], off
	v_add_co_u32_e32 v12, vcc, s6, v20
	v_addc_co_u32_e32 v13, vcc, 0, v22, vcc
	global_load_ubyte v37, v[12:13], off
	v_add_co_u32_e32 v12, vcc, s4, v21
	v_addc_co_u32_e32 v13, vcc, 0, v24, vcc
	global_load_ubyte v38, v[12:13], off
	v_add_co_u32_e32 v12, vcc, s2, v28
	v_addc_co_u32_e32 v13, vcc, 0, v26, vcc
	global_load_ubyte v39, v[12:13], off
	v_add_co_u32_e32 v12, vcc, s0, v31
	v_addc_co_u32_e32 v13, vcc, 0, v29, vcc
	global_load_ubyte v40, v[12:13], off
	v_add_co_u32_e32 v12, vcc, s6, v16
	v_addc_co_u32_e32 v13, vcc, 0, v22, vcc
	global_load_ubyte v41, v[12:13], off
	v_add_co_u32_e32 v12, vcc, s4, v17
	v_addc_co_u32_e32 v13, vcc, 0, v24, vcc
	global_load_ubyte v42, v[12:13], off
	v_add_co_u32_e32 v12, vcc, s2, v19
	v_addc_co_u32_e32 v13, vcc, 0, v26, vcc
	v_add_co_u32_e32 v14, vcc, s2, v18
	v_addc_co_u32_e32 v15, vcc, 0, v26, vcc
	global_load_ubyte v43, v[12:13], off
	global_load_ubyte v44, v[14:15], off
	v_add_co_u32_e32 v12, vcc, s0, v20
	v_addc_co_u32_e32 v13, vcc, 0, v29, vcc
	global_load_ubyte v45, v[12:13], off
	v_add_co_u32_e32 v12, vcc, s6, v21
	v_addc_co_u32_e32 v13, vcc, 0, v22, vcc
	global_load_ubyte v46, v[12:13], off
	v_add_co_u32_e32 v12, vcc, s4, v28
	v_addc_co_u32_e32 v13, vcc, 0, v24, vcc
	global_load_ubyte v47, v[12:13], off
	v_add_co_u32_e32 v12, vcc, s2, v31
	v_addc_co_u32_e32 v13, vcc, 0, v26, vcc
	global_load_ubyte v48, v[12:13], off
	v_add_co_u32_e32 v12, vcc, s0, v16
	v_addc_co_u32_e32 v13, vcc, 0, v29, vcc
	global_load_ubyte v49, v[12:13], off
	v_add_co_u32_e32 v12, vcc, s6, v17
	v_addc_co_u32_e32 v13, vcc, 0, v22, vcc
	;; [unrolled: 24-line block ×3, first 2 shown]
	global_load_ubyte v29, v[12:13], off
	v_add_co_u32_e32 v12, vcc, s6, v19
	v_addc_co_u32_e32 v13, vcc, 0, v22, vcc
	global_load_ubyte v19, v[12:13], off
	s_waitcnt vmcnt(31)
	v_and_b32_e32 v12, 0xffffffc0, v23
	s_waitcnt vmcnt(30)
	v_and_b32_e32 v13, 48, v25
	v_or_b32_e32 v12, v13, v12
	s_waitcnt vmcnt(29)
	v_and_b32_e32 v13, 12, v27
	v_or_b32_e32 v12, v12, v13
	;; [unrolled: 3-line block ×3, first 2 shown]
	s_waitcnt vmcnt(27)
	v_and_b32_e32 v12, 0xffffffc0, v32
	s_waitcnt vmcnt(26)
	v_and_b32_e32 v13, 48, v33
	v_or_b32_e32 v12, v13, v12
	s_waitcnt vmcnt(25)
	v_and_b32_e32 v13, 12, v34
	v_or_b32_e32 v12, v12, v13
	;; [unrolled: 3-line block ×3, first 2 shown]
	s_waitcnt vmcnt(23)
	v_and_b32_e32 v13, 0xffffffc0, v36
	s_waitcnt vmcnt(22)
	v_and_b32_e32 v14, 48, v37
	v_lshrrev_b16_e32 v15, 3, v11
	v_or_b32_e32 v13, v14, v13
	v_lshlrev_b16_e32 v14, 5, v10
	v_and_b32_e32 v15, 31, v15
	v_or_b32_e32 v22, v14, v15
	v_lshrrev_b16_e32 v14, 4, v22
	v_and_b32_e32 v14, 15, v14
	v_and_b32_e32 v14, 0xffff, v14
	v_mov_b32_e32 v15, s15
	v_add_co_u32_e32 v14, vcc, s14, v14
	v_addc_co_u32_e32 v15, vcc, 0, v15, vcc
	global_load_ubyte v23, v[14:15], off
	s_waitcnt vmcnt(22)
	v_and_b32_e32 v14, 12, v38
	v_or_b32_e32 v13, v13, v14
	s_waitcnt vmcnt(21)
	v_and_b32_e32 v14, 3, v39
	v_or_b32_e32 v13, v13, v14
	s_waitcnt vmcnt(20)
	v_and_b32_e32 v14, 0xffffffc0, v40
	s_waitcnt vmcnt(19)
	v_and_b32_e32 v15, 48, v41
	v_or_b32_e32 v14, v15, v14
	s_waitcnt vmcnt(18)
	v_and_b32_e32 v15, 12, v42
	v_or_b32_e32 v14, v14, v15
	s_waitcnt vmcnt(17)
	v_and_b32_e32 v15, 3, v43
	v_or_b32_e32 v14, v14, v15
	s_waitcnt vmcnt(16)
	v_and_b32_e32 v15, 0xffffffc0, v44
	s_waitcnt vmcnt(15)
	v_and_b32_e32 v16, 48, v45
	v_or_b32_e32 v15, v16, v15
	;; [unrolled: 11-line block ×4, first 2 shown]
	s_waitcnt vmcnt(6)
	v_and_b32_e32 v20, 12, v21
	v_or_b32_e32 v17, v17, v20
	s_waitcnt vmcnt(5)
	v_and_b32_e32 v20, 3, v28
	v_or_b32_e32 v17, v17, v20
	s_and_b32 s8, s8, 0xff
	s_lshl_b32 s9, s8, 2
	s_waitcnt vmcnt(4)
	v_and_b32_e32 v20, 0xffffffc0, v24
	v_lshrrev_b16_e32 v10, 3, v10
	v_xor_b32_e32 v8, s9, v8
	v_and_b32_e32 v10, 31, v10
	s_add_i32 s8, s8, 1
	s_waitcnt vmcnt(3)
	v_and_b32_e32 v21, 48, v26
	v_or_b32_e32 v20, v21, v20
	s_and_b32 s9, s8, 0xff
	s_cmp_le_u32 s9, s17
	s_waitcnt vmcnt(2)
	v_and_b32_e32 v21, 12, v29
	v_or_b32_e32 v20, v20, v21
	s_waitcnt vmcnt(1)
	v_and_b32_e32 v19, 3, v19
	v_or_b32_e32 v19, v20, v19
	v_lshlrev_b16_e32 v20, 5, v5
	v_lshrrev_b16_e32 v5, 3, v5
	v_or_b32_e32 v20, v20, v10
	v_and_b32_e32 v5, 31, v5
	v_lshlrev_b16_e32 v10, 5, v8
	v_lshrrev_b16_e32 v8, 3, v8
	v_or_b32_e32 v21, v10, v5
	v_lshlrev_b16_e32 v5, 5, v4
	v_and_b32_e32 v8, 31, v8
	v_lshrrev_b16_e32 v4, 3, v4
	v_or_b32_e32 v10, v5, v8
	v_lshlrev_b16_e32 v5, 5, v7
	v_and_b32_e32 v4, 31, v4
	;; [unrolled: 4-line block ×3, first 2 shown]
	v_or_b32_e32 v8, v4, v7
	v_lshrrev_b16_e32 v7, 3, v9
	v_lshlrev_b16_e32 v4, 5, v2
	v_and_b32_e32 v7, 31, v7
	v_lshrrev_b16_e32 v2, 3, v2
	v_or_b32_e32 v4, v4, v7
	v_lshlrev_b16_e32 v7, 5, v6
	v_and_b32_e32 v2, 31, v2
	v_lshrrev_b16_e32 v6, 3, v6
	v_or_b32_e32 v7, v7, v2
	;; [unrolled: 4-line block ×3, first 2 shown]
	v_lshlrev_b16_e32 v2, 5, v11
	v_and_b32_e32 v3, 31, v3
	v_or_b32_e32 v2, v2, v3
	v_and_b32_e32 v3, 15, v22
	s_waitcnt vmcnt(0)
	v_or_b32_e32 v6, v23, v3
	v_mov_b32_e32 v11, v21
	v_mov_b32_e32 v3, v20
	s_cbranch_scc1 .LBB0_3
; %bb.4:
	v_lshlrev_b16_e32 v3, 8, v16
	v_lshlrev_b16_e32 v11, 8, v19
	v_or_b32_sdwa v3, v15, v3 dst_sel:DWORD dst_unused:UNUSED_PAD src0_sel:BYTE_0 src1_sel:DWORD
	v_or_b32_sdwa v11, v17, v11 dst_sel:WORD_1 dst_unused:UNUSED_PAD src0_sel:BYTE_0 src1_sel:DWORD
	v_or_b32_sdwa v21, v3, v11 dst_sel:DWORD dst_unused:UNUSED_PAD src0_sel:WORD_0 src1_sel:DWORD
	v_lshlrev_b16_e32 v3, 8, v12
	v_lshlrev_b16_e32 v11, 8, v14
	v_or_b32_sdwa v3, v18, v3 dst_sel:DWORD dst_unused:UNUSED_PAD src0_sel:BYTE_0 src1_sel:DWORD
	v_or_b32_sdwa v11, v13, v11 dst_sel:WORD_1 dst_unused:UNUSED_PAD src0_sel:BYTE_0 src1_sel:DWORD
	v_or_b32_sdwa v20, v3, v11 dst_sel:DWORD dst_unused:UNUSED_PAD src0_sel:WORD_0 src1_sel:DWORD
	global_store_dwordx2 v[0:1], v[20:21], off
.LBB0_5:
	s_cmp_lg_u32 s17, 31
	s_cbranch_scc1 .LBB0_7
; %bb.6:
	global_load_ushort v11, v[0:1], off
	v_xor_b32_e32 v3, v15, v4
	v_xor_b32_sdwa v4, v16, v8 dst_sel:BYTE_1 dst_unused:UNUSED_PAD src0_sel:DWORD src1_sel:DWORD
	v_xor_b32_e32 v5, v17, v5
	v_xor_b32_sdwa v8, v19, v10 dst_sel:BYTE_1 dst_unused:UNUSED_PAD src0_sel:DWORD src1_sel:DWORD
	v_or_b32_sdwa v3, v3, v4 dst_sel:DWORD dst_unused:UNUSED_PAD src0_sel:BYTE_0 src1_sel:DWORD
	v_or_b32_sdwa v4, v5, v8 dst_sel:WORD_1 dst_unused:UNUSED_PAD src0_sel:BYTE_0 src1_sel:DWORD
	v_xor_b32_e32 v9, v13, v9
	v_xor_b32_sdwa v7, v14, v7 dst_sel:BYTE_1 dst_unused:UNUSED_PAD src0_sel:DWORD src1_sel:DWORD
	v_or_b32_sdwa v3, v3, v4 dst_sel:DWORD dst_unused:UNUSED_PAD src0_sel:WORD_0 src1_sel:DWORD
	s_waitcnt vmcnt(0)
	v_xor_b32_e32 v4, v11, v6
	v_xor_b32_sdwa v2, v11, v2 dst_sel:BYTE_1 dst_unused:UNUSED_PAD src0_sel:BYTE_1 src1_sel:DWORD
	v_or_b32_sdwa v2, v4, v2 dst_sel:DWORD dst_unused:UNUSED_PAD src0_sel:BYTE_0 src1_sel:DWORD
	v_or_b32_sdwa v4, v9, v7 dst_sel:WORD_1 dst_unused:UNUSED_PAD src0_sel:BYTE_0 src1_sel:DWORD
	v_or_b32_sdwa v2, v2, v4 dst_sel:DWORD dst_unused:UNUSED_PAD src0_sel:WORD_0 src1_sel:DWORD
	global_store_dwordx2 v[0:1], v[2:3], off
.LBB0_7:
	s_endpgm
	.section	.rodata,"a",@progbits
	.p2align	6, 0x0
	.amdhsa_kernel _Z7presentiiPKhS0_PhS0_S0_S0_S0_S0_
		.amdhsa_group_segment_fixed_size 0
		.amdhsa_private_segment_fixed_size 0
		.amdhsa_kernarg_size 328
		.amdhsa_user_sgpr_count 6
		.amdhsa_user_sgpr_private_segment_buffer 1
		.amdhsa_user_sgpr_dispatch_ptr 0
		.amdhsa_user_sgpr_queue_ptr 0
		.amdhsa_user_sgpr_kernarg_segment_ptr 1
		.amdhsa_user_sgpr_dispatch_id 0
		.amdhsa_user_sgpr_flat_scratch_init 0
		.amdhsa_user_sgpr_kernarg_preload_length 0
		.amdhsa_user_sgpr_kernarg_preload_offset 0
		.amdhsa_user_sgpr_private_segment_size 0
		.amdhsa_uses_dynamic_stack 0
		.amdhsa_system_sgpr_private_segment_wavefront_offset 0
		.amdhsa_system_sgpr_workgroup_id_x 1
		.amdhsa_system_sgpr_workgroup_id_y 0
		.amdhsa_system_sgpr_workgroup_id_z 0
		.amdhsa_system_sgpr_workgroup_info 0
		.amdhsa_system_vgpr_workitem_id 0
		.amdhsa_next_free_vgpr 53
		.amdhsa_next_free_sgpr 18
		.amdhsa_accum_offset 56
		.amdhsa_reserve_vcc 1
		.amdhsa_reserve_flat_scratch 0
		.amdhsa_float_round_mode_32 0
		.amdhsa_float_round_mode_16_64 0
		.amdhsa_float_denorm_mode_32 3
		.amdhsa_float_denorm_mode_16_64 3
		.amdhsa_dx10_clamp 1
		.amdhsa_ieee_mode 1
		.amdhsa_fp16_overflow 0
		.amdhsa_tg_split 0
		.amdhsa_exception_fp_ieee_invalid_op 0
		.amdhsa_exception_fp_denorm_src 0
		.amdhsa_exception_fp_ieee_div_zero 0
		.amdhsa_exception_fp_ieee_overflow 0
		.amdhsa_exception_fp_ieee_underflow 0
		.amdhsa_exception_fp_ieee_inexact 0
		.amdhsa_exception_int_div_zero 0
	.end_amdhsa_kernel
	.text
.Lfunc_end0:
	.size	_Z7presentiiPKhS0_PhS0_S0_S0_S0_S0_, .Lfunc_end0-_Z7presentiiPKhS0_PhS0_S0_S0_S0_S0_
                                        ; -- End function
	.section	.AMDGPU.csdata,"",@progbits
; Kernel info:
; codeLenInByte = 2908
; NumSgprs: 22
; NumVgprs: 53
; NumAgprs: 0
; TotalNumVgprs: 53
; ScratchSize: 0
; MemoryBound: 0
; FloatMode: 240
; IeeeMode: 1
; LDSByteSize: 0 bytes/workgroup (compile time only)
; SGPRBlocks: 2
; VGPRBlocks: 6
; NumSGPRsForWavesPerEU: 22
; NumVGPRsForWavesPerEU: 53
; AccumOffset: 56
; Occupancy: 8
; WaveLimiterHint : 1
; COMPUTE_PGM_RSRC2:SCRATCH_EN: 0
; COMPUTE_PGM_RSRC2:USER_SGPR: 6
; COMPUTE_PGM_RSRC2:TRAP_HANDLER: 0
; COMPUTE_PGM_RSRC2:TGID_X_EN: 1
; COMPUTE_PGM_RSRC2:TGID_Y_EN: 0
; COMPUTE_PGM_RSRC2:TGID_Z_EN: 0
; COMPUTE_PGM_RSRC2:TIDIG_COMP_CNT: 0
; COMPUTE_PGM_RSRC3_GFX90A:ACCUM_OFFSET: 13
; COMPUTE_PGM_RSRC3_GFX90A:TG_SPLIT: 0
	.text
	.p2alignl 6, 3212836864
	.fill 256, 4, 3212836864
	.type	__hip_cuid_d6a8f045100256a6,@object ; @__hip_cuid_d6a8f045100256a6
	.section	.bss,"aw",@nobits
	.globl	__hip_cuid_d6a8f045100256a6
__hip_cuid_d6a8f045100256a6:
	.byte	0                               ; 0x0
	.size	__hip_cuid_d6a8f045100256a6, 1

	.ident	"AMD clang version 19.0.0git (https://github.com/RadeonOpenCompute/llvm-project roc-6.4.0 25133 c7fe45cf4b819c5991fe208aaa96edf142730f1d)"
	.section	".note.GNU-stack","",@progbits
	.addrsig
	.addrsig_sym __hip_cuid_d6a8f045100256a6
	.amdgpu_metadata
---
amdhsa.kernels:
  - .agpr_count:     0
    .args:
      - .offset:         0
        .size:           4
        .value_kind:     by_value
      - .offset:         4
        .size:           4
        .value_kind:     by_value
      - .actual_access:  read_only
        .address_space:  global
        .offset:         8
        .size:           8
        .value_kind:     global_buffer
      - .actual_access:  read_only
        .address_space:  global
        .offset:         16
        .size:           8
        .value_kind:     global_buffer
      - .address_space:  global
        .offset:         24
        .size:           8
        .value_kind:     global_buffer
      - .actual_access:  read_only
        .address_space:  global
        .offset:         32
        .size:           8
        .value_kind:     global_buffer
      - .actual_access:  read_only
        .address_space:  global
        .offset:         40
        .size:           8
        .value_kind:     global_buffer
      - .actual_access:  read_only
        .address_space:  global
        .offset:         48
        .size:           8
        .value_kind:     global_buffer
      - .actual_access:  read_only
        .address_space:  global
        .offset:         56
        .size:           8
        .value_kind:     global_buffer
      - .actual_access:  read_only
        .address_space:  global
        .offset:         64
        .size:           8
        .value_kind:     global_buffer
      - .offset:         72
        .size:           4
        .value_kind:     hidden_block_count_x
      - .offset:         76
        .size:           4
        .value_kind:     hidden_block_count_y
      - .offset:         80
        .size:           4
        .value_kind:     hidden_block_count_z
      - .offset:         84
        .size:           2
        .value_kind:     hidden_group_size_x
      - .offset:         86
        .size:           2
        .value_kind:     hidden_group_size_y
      - .offset:         88
        .size:           2
        .value_kind:     hidden_group_size_z
      - .offset:         90
        .size:           2
        .value_kind:     hidden_remainder_x
      - .offset:         92
        .size:           2
        .value_kind:     hidden_remainder_y
      - .offset:         94
        .size:           2
        .value_kind:     hidden_remainder_z
      - .offset:         112
        .size:           8
        .value_kind:     hidden_global_offset_x
      - .offset:         120
        .size:           8
        .value_kind:     hidden_global_offset_y
      - .offset:         128
        .size:           8
        .value_kind:     hidden_global_offset_z
      - .offset:         136
        .size:           2
        .value_kind:     hidden_grid_dims
    .group_segment_fixed_size: 0
    .kernarg_segment_align: 8
    .kernarg_segment_size: 328
    .language:       OpenCL C
    .language_version:
      - 2
      - 0
    .max_flat_workgroup_size: 1024
    .name:           _Z7presentiiPKhS0_PhS0_S0_S0_S0_S0_
    .private_segment_fixed_size: 0
    .sgpr_count:     22
    .sgpr_spill_count: 0
    .symbol:         _Z7presentiiPKhS0_PhS0_S0_S0_S0_S0_.kd
    .uniform_work_group_size: 1
    .uses_dynamic_stack: false
    .vgpr_count:     53
    .vgpr_spill_count: 0
    .wavefront_size: 64
amdhsa.target:   amdgcn-amd-amdhsa--gfx90a
amdhsa.version:
  - 1
  - 2
...

	.end_amdgpu_metadata
